;; amdgpu-corpus repo=ROCm/rocFFT kind=compiled arch=gfx906 opt=O3
	.text
	.amdgcn_target "amdgcn-amd-amdhsa--gfx906"
	.amdhsa_code_object_version 6
	.protected	fft_rtc_fwd_len864_factors_3_6_16_3_wgs_54_tpt_54_halfLds_sp_op_CI_CI_sbrr_dirReg ; -- Begin function fft_rtc_fwd_len864_factors_3_6_16_3_wgs_54_tpt_54_halfLds_sp_op_CI_CI_sbrr_dirReg
	.globl	fft_rtc_fwd_len864_factors_3_6_16_3_wgs_54_tpt_54_halfLds_sp_op_CI_CI_sbrr_dirReg
	.p2align	8
	.type	fft_rtc_fwd_len864_factors_3_6_16_3_wgs_54_tpt_54_halfLds_sp_op_CI_CI_sbrr_dirReg,@function
fft_rtc_fwd_len864_factors_3_6_16_3_wgs_54_tpt_54_halfLds_sp_op_CI_CI_sbrr_dirReg: ; @fft_rtc_fwd_len864_factors_3_6_16_3_wgs_54_tpt_54_halfLds_sp_op_CI_CI_sbrr_dirReg
; %bb.0:
	s_load_dwordx4 s[16:19], s[4:5], 0x18
	s_load_dwordx4 s[8:11], s[4:5], 0x0
	;; [unrolled: 1-line block ×3, first 2 shown]
	v_mul_u32_u24_e32 v1, 0x4be, v0
	v_add_u32_sdwa v10, s6, v1 dst_sel:DWORD dst_unused:UNUSED_PAD src0_sel:DWORD src1_sel:WORD_1
	s_waitcnt lgkmcnt(0)
	s_load_dwordx2 s[2:3], s[16:17], 0x0
	s_load_dwordx2 s[20:21], s[18:19], 0x0
	v_cmp_lt_u64_e64 s[0:1], s[10:11], 2
	v_mov_b32_e32 v1, 0
	v_mov_b32_e32 v8, 0
	;; [unrolled: 1-line block ×3, first 2 shown]
	s_and_b64 vcc, exec, s[0:1]
	v_mov_b32_e32 v9, 0
	s_cbranch_vccnz .LBB0_8
; %bb.1:
	s_load_dwordx2 s[0:1], s[4:5], 0x10
	s_add_u32 s6, s18, 8
	s_addc_u32 s7, s19, 0
	s_add_u32 s22, s16, 8
	s_addc_u32 s23, s17, 0
	v_mov_b32_e32 v8, 0
	s_waitcnt lgkmcnt(0)
	s_add_u32 s24, s0, 8
	v_mov_b32_e32 v9, 0
	v_mov_b32_e32 v4, v8
	s_addc_u32 s25, s1, 0
	s_mov_b64 s[26:27], 1
	v_mov_b32_e32 v5, v9
.LBB0_2:                                ; =>This Inner Loop Header: Depth=1
	s_load_dwordx2 s[28:29], s[24:25], 0x0
                                        ; implicit-def: $vgpr6_vgpr7
	s_waitcnt lgkmcnt(0)
	v_or_b32_e32 v2, s29, v11
	v_cmp_ne_u64_e32 vcc, 0, v[1:2]
	s_and_saveexec_b64 s[0:1], vcc
	s_xor_b64 s[30:31], exec, s[0:1]
	s_cbranch_execz .LBB0_4
; %bb.3:                                ;   in Loop: Header=BB0_2 Depth=1
	v_cvt_f32_u32_e32 v2, s28
	v_cvt_f32_u32_e32 v3, s29
	s_sub_u32 s0, 0, s28
	s_subb_u32 s1, 0, s29
	v_mac_f32_e32 v2, 0x4f800000, v3
	v_rcp_f32_e32 v2, v2
	v_mul_f32_e32 v2, 0x5f7ffffc, v2
	v_mul_f32_e32 v3, 0x2f800000, v2
	v_trunc_f32_e32 v3, v3
	v_mac_f32_e32 v2, 0xcf800000, v3
	v_cvt_u32_f32_e32 v3, v3
	v_cvt_u32_f32_e32 v2, v2
	v_mul_lo_u32 v6, s0, v3
	v_mul_hi_u32 v7, s0, v2
	v_mul_lo_u32 v13, s1, v2
	v_mul_lo_u32 v12, s0, v2
	v_add_u32_e32 v6, v7, v6
	v_add_u32_e32 v6, v6, v13
	v_mul_hi_u32 v7, v2, v12
	v_mul_lo_u32 v13, v2, v6
	v_mul_hi_u32 v15, v2, v6
	v_mul_hi_u32 v14, v3, v12
	v_mul_lo_u32 v12, v3, v12
	v_mul_hi_u32 v16, v3, v6
	v_add_co_u32_e32 v7, vcc, v7, v13
	v_addc_co_u32_e32 v13, vcc, 0, v15, vcc
	v_mul_lo_u32 v6, v3, v6
	v_add_co_u32_e32 v7, vcc, v7, v12
	v_addc_co_u32_e32 v7, vcc, v13, v14, vcc
	v_addc_co_u32_e32 v12, vcc, 0, v16, vcc
	v_add_co_u32_e32 v6, vcc, v7, v6
	v_addc_co_u32_e32 v7, vcc, 0, v12, vcc
	v_add_co_u32_e32 v2, vcc, v2, v6
	v_addc_co_u32_e32 v3, vcc, v3, v7, vcc
	v_mul_lo_u32 v6, s0, v3
	v_mul_hi_u32 v7, s0, v2
	v_mul_lo_u32 v12, s1, v2
	v_mul_lo_u32 v13, s0, v2
	v_add_u32_e32 v6, v7, v6
	v_add_u32_e32 v6, v6, v12
	v_mul_lo_u32 v14, v2, v6
	v_mul_hi_u32 v15, v2, v13
	v_mul_hi_u32 v16, v2, v6
	;; [unrolled: 1-line block ×3, first 2 shown]
	v_mul_lo_u32 v13, v3, v13
	v_mul_hi_u32 v7, v3, v6
	v_add_co_u32_e32 v14, vcc, v15, v14
	v_addc_co_u32_e32 v15, vcc, 0, v16, vcc
	v_mul_lo_u32 v6, v3, v6
	v_add_co_u32_e32 v13, vcc, v14, v13
	v_addc_co_u32_e32 v12, vcc, v15, v12, vcc
	v_addc_co_u32_e32 v7, vcc, 0, v7, vcc
	v_add_co_u32_e32 v6, vcc, v12, v6
	v_addc_co_u32_e32 v7, vcc, 0, v7, vcc
	v_add_co_u32_e32 v6, vcc, v2, v6
	v_addc_co_u32_e32 v7, vcc, v3, v7, vcc
	v_mad_u64_u32 v[2:3], s[0:1], v10, v7, 0
	v_mul_hi_u32 v12, v10, v6
	v_add_co_u32_e32 v12, vcc, v12, v2
	v_addc_co_u32_e32 v13, vcc, 0, v3, vcc
	v_mad_u64_u32 v[2:3], s[0:1], v11, v6, 0
	v_mad_u64_u32 v[6:7], s[0:1], v11, v7, 0
	v_add_co_u32_e32 v2, vcc, v12, v2
	v_addc_co_u32_e32 v2, vcc, v13, v3, vcc
	v_addc_co_u32_e32 v3, vcc, 0, v7, vcc
	v_add_co_u32_e32 v6, vcc, v2, v6
	v_addc_co_u32_e32 v7, vcc, 0, v3, vcc
	v_mul_lo_u32 v12, s29, v6
	v_mul_lo_u32 v13, s28, v7
	v_mad_u64_u32 v[2:3], s[0:1], s28, v6, 0
	v_add3_u32 v3, v3, v13, v12
	v_sub_u32_e32 v12, v11, v3
	v_mov_b32_e32 v13, s29
	v_sub_co_u32_e32 v2, vcc, v10, v2
	v_subb_co_u32_e64 v12, s[0:1], v12, v13, vcc
	v_subrev_co_u32_e64 v13, s[0:1], s28, v2
	v_subbrev_co_u32_e64 v12, s[0:1], 0, v12, s[0:1]
	v_cmp_le_u32_e64 s[0:1], s29, v12
	v_cndmask_b32_e64 v14, 0, -1, s[0:1]
	v_cmp_le_u32_e64 s[0:1], s28, v13
	v_cndmask_b32_e64 v13, 0, -1, s[0:1]
	v_cmp_eq_u32_e64 s[0:1], s29, v12
	v_cndmask_b32_e64 v12, v14, v13, s[0:1]
	v_add_co_u32_e64 v13, s[0:1], 2, v6
	v_addc_co_u32_e64 v14, s[0:1], 0, v7, s[0:1]
	v_add_co_u32_e64 v15, s[0:1], 1, v6
	v_addc_co_u32_e64 v16, s[0:1], 0, v7, s[0:1]
	v_subb_co_u32_e32 v3, vcc, v11, v3, vcc
	v_cmp_ne_u32_e64 s[0:1], 0, v12
	v_cmp_le_u32_e32 vcc, s29, v3
	v_cndmask_b32_e64 v12, v16, v14, s[0:1]
	v_cndmask_b32_e64 v14, 0, -1, vcc
	v_cmp_le_u32_e32 vcc, s28, v2
	v_cndmask_b32_e64 v2, 0, -1, vcc
	v_cmp_eq_u32_e32 vcc, s29, v3
	v_cndmask_b32_e32 v2, v14, v2, vcc
	v_cmp_ne_u32_e32 vcc, 0, v2
	v_cndmask_b32_e64 v2, v15, v13, s[0:1]
	v_cndmask_b32_e32 v7, v7, v12, vcc
	v_cndmask_b32_e32 v6, v6, v2, vcc
.LBB0_4:                                ;   in Loop: Header=BB0_2 Depth=1
	s_andn2_saveexec_b64 s[0:1], s[30:31]
	s_cbranch_execz .LBB0_6
; %bb.5:                                ;   in Loop: Header=BB0_2 Depth=1
	v_cvt_f32_u32_e32 v2, s28
	s_sub_i32 s30, 0, s28
	v_rcp_iflag_f32_e32 v2, v2
	v_mul_f32_e32 v2, 0x4f7ffffe, v2
	v_cvt_u32_f32_e32 v2, v2
	v_mul_lo_u32 v3, s30, v2
	v_mul_hi_u32 v3, v2, v3
	v_add_u32_e32 v2, v2, v3
	v_mul_hi_u32 v2, v10, v2
	v_mul_lo_u32 v3, v2, s28
	v_add_u32_e32 v6, 1, v2
	v_sub_u32_e32 v3, v10, v3
	v_subrev_u32_e32 v7, s28, v3
	v_cmp_le_u32_e32 vcc, s28, v3
	v_cndmask_b32_e32 v3, v3, v7, vcc
	v_cndmask_b32_e32 v2, v2, v6, vcc
	v_add_u32_e32 v6, 1, v2
	v_cmp_le_u32_e32 vcc, s28, v3
	v_cndmask_b32_e32 v6, v2, v6, vcc
	v_mov_b32_e32 v7, v1
.LBB0_6:                                ;   in Loop: Header=BB0_2 Depth=1
	s_or_b64 exec, exec, s[0:1]
	v_mul_lo_u32 v12, v7, s28
	v_mul_lo_u32 v13, v6, s29
	v_mad_u64_u32 v[2:3], s[0:1], v6, s28, 0
	s_load_dwordx2 s[0:1], s[22:23], 0x0
	s_load_dwordx2 s[28:29], s[6:7], 0x0
	v_add3_u32 v3, v3, v13, v12
	v_sub_co_u32_e32 v2, vcc, v10, v2
	v_subb_co_u32_e32 v3, vcc, v11, v3, vcc
	s_waitcnt lgkmcnt(0)
	v_mul_lo_u32 v10, s0, v3
	v_mul_lo_u32 v11, s1, v2
	v_mad_u64_u32 v[8:9], s[0:1], s0, v2, v[8:9]
	v_mul_lo_u32 v3, s28, v3
	v_mul_lo_u32 v12, s29, v2
	v_mad_u64_u32 v[4:5], s[0:1], s28, v2, v[4:5]
	s_add_u32 s26, s26, 1
	s_addc_u32 s27, s27, 0
	s_add_u32 s6, s6, 8
	v_add3_u32 v5, v12, v5, v3
	s_addc_u32 s7, s7, 0
	v_mov_b32_e32 v2, s10
	s_add_u32 s22, s22, 8
	v_mov_b32_e32 v3, s11
	s_addc_u32 s23, s23, 0
	v_cmp_ge_u64_e32 vcc, s[26:27], v[2:3]
	s_add_u32 s24, s24, 8
	v_add3_u32 v9, v11, v9, v10
	s_addc_u32 s25, s25, 0
	s_cbranch_vccnz .LBB0_9
; %bb.7:                                ;   in Loop: Header=BB0_2 Depth=1
	v_mov_b32_e32 v11, v7
	v_mov_b32_e32 v10, v6
	s_branch .LBB0_2
.LBB0_8:
	v_mov_b32_e32 v4, v8
	v_mov_b32_e32 v6, v10
	;; [unrolled: 1-line block ×4, first 2 shown]
.LBB0_9:
	s_load_dwordx2 s[0:1], s[4:5], 0x28
	s_lshl_b64 s[10:11], s[10:11], 3
	s_add_u32 s4, s18, s10
	s_addc_u32 s5, s19, s11
                                        ; implicit-def: $vgpr53
                                        ; implicit-def: $vgpr54
                                        ; implicit-def: $vgpr55
                                        ; implicit-def: $vgpr56
                                        ; implicit-def: $vgpr57
	s_waitcnt lgkmcnt(0)
	v_cmp_gt_u64_e32 vcc, s[0:1], v[6:7]
	v_cmp_le_u64_e64 s[0:1], s[0:1], v[6:7]
	s_and_saveexec_b64 s[6:7], s[0:1]
	s_xor_b64 s[0:1], exec, s[6:7]
; %bb.10:
	s_mov_b32 s6, 0x4bda130
	v_mul_hi_u32 v1, v0, s6
                                        ; implicit-def: $vgpr8_vgpr9
	v_mul_u32_u24_e32 v1, 54, v1
	v_sub_u32_e32 v53, v0, v1
	v_add_u32_e32 v54, 54, v53
	v_add_u32_e32 v55, 0x6c, v53
	;; [unrolled: 1-line block ×4, first 2 shown]
                                        ; implicit-def: $vgpr0
; %bb.11:
	s_or_saveexec_b64 s[6:7], s[0:1]
	s_load_dwordx2 s[4:5], s[4:5], 0x0
                                        ; implicit-def: $vgpr10
                                        ; implicit-def: $vgpr38
                                        ; implicit-def: $vgpr40
                                        ; implicit-def: $vgpr16
                                        ; implicit-def: $vgpr34
                                        ; implicit-def: $vgpr36
                                        ; implicit-def: $vgpr18
                                        ; implicit-def: $vgpr30
                                        ; implicit-def: $vgpr32
                                        ; implicit-def: $vgpr20
                                        ; implicit-def: $vgpr24
                                        ; implicit-def: $vgpr28
                                        ; implicit-def: $vgpr1
                                        ; implicit-def: $vgpr22
                                        ; implicit-def: $vgpr26
                                        ; implicit-def: $vgpr44
                                        ; implicit-def: $vgpr42
                                        ; implicit-def: $vgpr3
	s_xor_b64 exec, exec, s[6:7]
	s_cbranch_execz .LBB0_15
; %bb.12:
	s_add_u32 s0, s16, s10
	s_mov_b32 s10, 0x4bda130
	s_addc_u32 s1, s17, s11
	v_mul_hi_u32 v1, v0, s10
	s_load_dwordx2 s[0:1], s[0:1], 0x0
	v_lshlrev_b64 v[8:9], 3, v[8:9]
	v_mul_u32_u24_e32 v1, 54, v1
	v_sub_u32_e32 v53, v0, v1
	s_waitcnt lgkmcnt(0)
	v_mul_lo_u32 v12, s1, v6
	v_mad_u64_u32 v[0:1], s[10:11], s2, v53, 0
	v_mul_lo_u32 v13, s0, v7
	v_mad_u64_u32 v[2:3], s[0:1], s0, v6, 0
	v_add_u32_e32 v54, 54, v53
	v_add_u32_e32 v14, 0x276, v53
	v_mad_u64_u32 v[10:11], s[0:1], s3, v53, v[1:2]
	v_add3_u32 v3, v3, v13, v12
	v_lshlrev_b64 v[2:3], 3, v[2:3]
	v_mov_b32_e32 v1, v10
	v_mov_b32_e32 v10, s13
	v_add_co_u32_e64 v2, s[0:1], s12, v2
	v_add_u32_e32 v13, 0x120, v53
	v_addc_co_u32_e64 v12, s[0:1], v10, v3, s[0:1]
	v_mad_u64_u32 v[10:11], s[0:1], s2, v13, 0
	v_add_co_u32_e64 v3, s[0:1], v2, v8
	v_mov_b32_e32 v2, v11
	v_addc_co_u32_e64 v8, s[0:1], v12, v9, s[0:1]
	v_mad_u64_u32 v[11:12], s[0:1], s3, v13, v[2:3]
	v_or_b32_e32 v9, 0x240, v53
	v_mad_u64_u32 v[12:13], s[0:1], s2, v9, 0
	v_lshlrev_b64 v[0:1], 3, v[0:1]
	v_add_u32_e32 v55, 0x6c, v53
	v_add_co_u32_e64 v41, s[0:1], v3, v0
	v_mov_b32_e32 v2, v13
	v_addc_co_u32_e64 v42, s[0:1], v8, v1, s[0:1]
	v_lshlrev_b64 v[0:1], 3, v[10:11]
	v_mad_u64_u32 v[9:10], s[0:1], s3, v9, v[2:3]
	v_mad_u64_u32 v[10:11], s[0:1], s2, v54, 0
	v_add_co_u32_e64 v43, s[0:1], v3, v0
	v_mov_b32_e32 v13, v9
	v_mov_b32_e32 v2, v11
	v_addc_co_u32_e64 v44, s[0:1], v8, v1, s[0:1]
	v_lshlrev_b64 v[0:1], 3, v[12:13]
	v_mad_u64_u32 v[11:12], s[0:1], s3, v54, v[2:3]
	v_add_u32_e32 v9, 0x156, v53
	v_mad_u64_u32 v[12:13], s[0:1], s2, v9, 0
	v_add_co_u32_e64 v45, s[0:1], v3, v0
	v_mov_b32_e32 v2, v13
	v_addc_co_u32_e64 v46, s[0:1], v8, v1, s[0:1]
	v_lshlrev_b64 v[0:1], 3, v[10:11]
	v_mad_u64_u32 v[9:10], s[0:1], s3, v9, v[2:3]
	v_mad_u64_u32 v[10:11], s[0:1], s2, v14, 0
	v_add_co_u32_e64 v47, s[0:1], v3, v0
	v_mov_b32_e32 v13, v9
	v_mov_b32_e32 v2, v11
	v_addc_co_u32_e64 v48, s[0:1], v8, v1, s[0:1]
	v_lshlrev_b64 v[0:1], 3, v[12:13]
	v_mad_u64_u32 v[11:12], s[0:1], s3, v14, v[2:3]
	v_mad_u64_u32 v[12:13], s[0:1], s2, v55, 0
	v_add_co_u32_e64 v49, s[0:1], v3, v0
	v_mov_b32_e32 v2, v13
	v_addc_co_u32_e64 v50, s[0:1], v8, v1, s[0:1]
	v_lshlrev_b64 v[0:1], 3, v[10:11]
	v_mad_u64_u32 v[9:10], s[0:1], s3, v55, v[2:3]
	v_add_u32_e32 v14, 0x18c, v53
	v_mad_u64_u32 v[10:11], s[0:1], s2, v14, 0
	v_add_co_u32_e64 v51, s[0:1], v3, v0
	v_mov_b32_e32 v13, v9
	v_mov_b32_e32 v2, v11
	v_addc_co_u32_e64 v52, s[0:1], v8, v1, s[0:1]
	v_lshlrev_b64 v[0:1], 3, v[12:13]
	v_mad_u64_u32 v[11:12], s[0:1], s3, v14, v[2:3]
	v_add_u32_e32 v9, 0x2ac, v53
	v_mad_u64_u32 v[12:13], s[0:1], s2, v9, 0
	v_add_co_u32_e64 v58, s[0:1], v3, v0
	v_mov_b32_e32 v2, v13
	v_addc_co_u32_e64 v59, s[0:1], v8, v1, s[0:1]
	v_lshlrev_b64 v[0:1], 3, v[10:11]
	v_mad_u64_u32 v[9:10], s[0:1], s3, v9, v[2:3]
	v_add_u32_e32 v56, 0xa2, v53
	v_mad_u64_u32 v[10:11], s[0:1], s2, v56, 0
	v_add_co_u32_e64 v60, s[0:1], v3, v0
	v_mov_b32_e32 v13, v9
	v_mov_b32_e32 v2, v11
	v_addc_co_u32_e64 v61, s[0:1], v8, v1, s[0:1]
	v_lshlrev_b64 v[0:1], 3, v[12:13]
	v_mad_u64_u32 v[11:12], s[0:1], s3, v56, v[2:3]
	v_add_u32_e32 v9, 0x1c2, v53
	v_mad_u64_u32 v[12:13], s[0:1], s2, v9, 0
	v_add_co_u32_e64 v62, s[0:1], v3, v0
	v_mov_b32_e32 v2, v13
	v_addc_co_u32_e64 v63, s[0:1], v8, v1, s[0:1]
	v_lshlrev_b64 v[0:1], 3, v[10:11]
	v_mad_u64_u32 v[9:10], s[0:1], s3, v9, v[2:3]
	v_add_u32_e32 v14, 0x2e2, v53
	v_mad_u64_u32 v[10:11], s[0:1], s2, v14, 0
	v_add_co_u32_e64 v64, s[0:1], v3, v0
	v_mov_b32_e32 v13, v9
	v_mov_b32_e32 v2, v11
	v_addc_co_u32_e64 v65, s[0:1], v8, v1, s[0:1]
	v_lshlrev_b64 v[0:1], 3, v[12:13]
	v_mad_u64_u32 v[11:12], s[0:1], s3, v14, v[2:3]
	v_add_u32_e32 v57, 0xd8, v53
	v_mad_u64_u32 v[12:13], s[0:1], s2, v57, 0
	v_add_co_u32_e64 v66, s[0:1], v3, v0
	v_mov_b32_e32 v2, v13
	v_addc_co_u32_e64 v67, s[0:1], v8, v1, s[0:1]
	v_lshlrev_b64 v[0:1], 3, v[10:11]
	v_mad_u64_u32 v[9:10], s[0:1], s3, v57, v[2:3]
	v_add_u32_e32 v14, 0x1f8, v53
	v_mad_u64_u32 v[10:11], s[0:1], s2, v14, 0
	v_add_co_u32_e64 v68, s[0:1], v3, v0
	v_mov_b32_e32 v13, v9
	v_mov_b32_e32 v2, v11
	v_addc_co_u32_e64 v69, s[0:1], v8, v1, s[0:1]
	v_lshlrev_b64 v[0:1], 3, v[12:13]
	v_mad_u64_u32 v[11:12], s[0:1], s3, v14, v[2:3]
	v_add_u32_e32 v9, 0x318, v53
	v_mad_u64_u32 v[12:13], s[0:1], s2, v9, 0
	v_add_co_u32_e64 v70, s[0:1], v3, v0
	v_mov_b32_e32 v2, v13
	v_addc_co_u32_e64 v71, s[0:1], v8, v1, s[0:1]
	v_lshlrev_b64 v[0:1], 3, v[10:11]
	v_mad_u64_u32 v[9:10], s[0:1], s3, v9, v[2:3]
	v_add_co_u32_e64 v72, s[0:1], v3, v0
	v_mov_b32_e32 v13, v9
	v_addc_co_u32_e64 v73, s[0:1], v8, v1, s[0:1]
	v_lshlrev_b64 v[0:1], 3, v[12:13]
                                        ; implicit-def: $vgpr2
	v_add_co_u32_e64 v11, s[0:1], v3, v0
	v_addc_co_u32_e64 v12, s[0:1], v8, v1, s[0:1]
	global_load_dwordx2 v[9:10], v[41:42], off
	global_load_dwordx2 v[37:38], v[43:44], off
	;; [unrolled: 1-line block ×15, first 2 shown]
	v_cmp_gt_u32_e64 s[0:1], 18, v53
                                        ; implicit-def: $vgpr41
                                        ; implicit-def: $vgpr43
	s_and_saveexec_b64 s[10:11], s[0:1]
	s_cbranch_execz .LBB0_14
; %bb.13:
	v_add_u32_e32 v41, 0x10e, v53
	v_mad_u64_u32 v[11:12], s[0:1], s2, v41, 0
	v_add_u32_e32 v43, 0x22e, v53
	v_mad_u64_u32 v[13:14], s[0:1], s2, v43, 0
	v_mov_b32_e32 v2, v12
	v_mad_u64_u32 v[41:42], s[0:1], s3, v41, v[2:3]
	v_mov_b32_e32 v2, v14
	v_add_u32_e32 v44, 0x34e, v53
	v_mov_b32_e32 v12, v41
	v_mad_u64_u32 v[41:42], s[0:1], s3, v43, v[2:3]
	v_mad_u64_u32 v[42:43], s[0:1], s2, v44, 0
	v_lshlrev_b64 v[11:12], 3, v[11:12]
	v_mov_b32_e32 v14, v41
	v_add_co_u32_e64 v11, s[0:1], v3, v11
	v_mov_b32_e32 v2, v43
	v_addc_co_u32_e64 v12, s[0:1], v8, v12, s[0:1]
	v_mad_u64_u32 v[43:44], s[0:1], s3, v44, v[2:3]
	v_lshlrev_b64 v[13:14], 3, v[13:14]
	v_add_co_u32_e64 v13, s[0:1], v3, v13
	v_lshlrev_b64 v[41:42], 3, v[42:43]
	v_addc_co_u32_e64 v14, s[0:1], v8, v14, s[0:1]
	v_add_co_u32_e64 v45, s[0:1], v3, v41
	v_addc_co_u32_e64 v46, s[0:1], v8, v42, s[0:1]
	global_load_dwordx2 v[2:3], v[11:12], off
	global_load_dwordx2 v[41:42], v[13:14], off
	;; [unrolled: 1-line block ×3, first 2 shown]
.LBB0_14:
	s_or_b64 exec, exec, s[10:11]
.LBB0_15:
	s_or_b64 exec, exec, s[6:7]
	s_waitcnt vmcnt(12)
	v_add_f32_e32 v11, v37, v39
	v_add_f32_e32 v8, v9, v37
	v_fmac_f32_e32 v9, -0.5, v11
	v_sub_f32_e32 v11, v38, v40
	v_mov_b32_e32 v45, v9
	v_fmac_f32_e32 v45, 0x3f5db3d7, v11
	v_fmac_f32_e32 v9, 0xbf5db3d7, v11
	s_waitcnt vmcnt(10)
	v_add_f32_e32 v11, v15, v33
	s_waitcnt vmcnt(9)
	v_add_f32_e32 v46, v11, v35
	v_add_f32_e32 v11, v33, v35
	v_fmac_f32_e32 v15, -0.5, v11
	v_sub_f32_e32 v11, v34, v36
	v_mov_b32_e32 v47, v15
	v_fmac_f32_e32 v47, 0x3f5db3d7, v11
	v_fmac_f32_e32 v15, 0xbf5db3d7, v11
	s_waitcnt vmcnt(7)
	v_add_f32_e32 v11, v17, v29
	;; [unrolled: 10-line block ×4, first 2 shown]
	s_waitcnt vmcnt(0)
	v_add_f32_e32 v59, v11, v25
	v_add_f32_e32 v11, v21, v25
	v_fmac_f32_e32 v0, -0.5, v11
	v_sub_f32_e32 v11, v22, v26
	v_mov_b32_e32 v14, v0
	v_fmac_f32_e32 v14, 0x3f5db3d7, v11
	v_fmac_f32_e32 v0, 0xbf5db3d7, v11
	v_add_f32_e32 v11, v41, v2
	v_add_f32_e32 v12, v43, v11
	;; [unrolled: 1-line block ×3, first 2 shown]
	v_fmac_f32_e32 v2, -0.5, v11
	v_sub_f32_e32 v11, v42, v44
	v_mov_b32_e32 v13, v2
	v_add_f32_e32 v8, v8, v39
	v_fmac_f32_e32 v13, 0x3f5db3d7, v11
	v_fmac_f32_e32 v2, 0xbf5db3d7, v11
	v_mad_u32_u24 v11, v53, 12, 0
	ds_write2_b32 v11, v8, v45 offset1:1
	ds_write_b32 v11, v9 offset:8
	v_mad_i32_i24 v63, v54, 12, 0
	v_mad_i32_i24 v62, v55, 12, 0
	v_mad_i32_i24 v8, v56, 12, 0
	ds_write2_b32 v63, v46, v47 offset1:1
	ds_write_b32 v63, v15 offset:8
	ds_write2_b32 v62, v48, v49 offset1:1
	ds_write_b32 v62, v17 offset:8
	;; [unrolled: 2-line block ×3, first 2 shown]
	v_mad_i32_i24 v8, v57, 12, 0
	v_cmp_gt_u32_e64 s[0:1], 18, v53
	ds_write2_b32 v8, v59, v14 offset1:1
	ds_write_b32 v8, v0 offset:8
	s_and_saveexec_b64 s[2:3], s[0:1]
	s_cbranch_execz .LBB0_17
; %bb.16:
	v_add_u32_e32 v8, 0xca8, v11
	ds_write2_b32 v8, v12, v13 offset1:1
	ds_write_b32 v11, v2 offset:3248
.LBB0_17:
	s_or_b64 exec, exec, s[2:3]
	v_lshlrev_b32_e32 v8, 3, v53
	v_sub_u32_e32 v58, v11, v8
	v_add_u32_e32 v15, 0x200, v58
	s_waitcnt lgkmcnt(0)
	; wave barrier
	s_waitcnt lgkmcnt(0)
	ds_read2_b32 v[51:52], v15 offset0:70 offset1:160
	v_add_u32_e32 v15, 0x400, v58
	ds_read2_b32 v[49:50], v15 offset0:86 offset1:176
	v_add_u32_e32 v15, 0x600, v58
	v_lshlrev_b32_e32 v65, 3, v54
	ds_read2_b32 v[47:48], v15 offset0:102 offset1:192
	v_add_u32_e32 v66, 0x800, v58
	v_sub_u32_e32 v15, v63, v65
	ds_read2_b32 v[8:9], v58 offset1:144
	ds_read2_b32 v[45:46], v66 offset0:118 offset1:208
	ds_read_b32 v60, v15
	ds_read_b32 v61, v58 offset:3096
	v_mul_i32_i24_e32 v19, 12, v56
	v_mul_i32_i24_e32 v17, 12, v57
	v_cmp_gt_u32_e64 s[2:3], 36, v53
	v_lshlrev_b32_e32 v64, 3, v55
	s_and_saveexec_b64 s[6:7], s[2:3]
	s_cbranch_execz .LBB0_19
; %bb.18:
	v_add_u32_e32 v2, 0x300, v58
	v_sub_u32_e32 v0, v62, v64
	ds_read2_b32 v[14:15], v2 offset0:60 offset1:204
	ds_read2_b32 v[12:13], v66 offset0:28 offset1:172
	ds_read_b32 v59, v0
	ds_read_b32 v2, v58 offset:3312
	s_waitcnt lgkmcnt(3)
	v_mov_b32_e32 v0, v15
.LBB0_19:
	s_or_b64 exec, exec, s[6:7]
	v_add_f32_e32 v15, v10, v38
	v_add_f32_e32 v66, v15, v40
	v_add_f32_e32 v15, v38, v40
	v_fmac_f32_e32 v10, -0.5, v15
	v_sub_f32_e32 v15, v37, v39
	v_mov_b32_e32 v38, v10
	v_fmac_f32_e32 v38, 0xbf5db3d7, v15
	v_fmac_f32_e32 v10, 0x3f5db3d7, v15
	v_add_f32_e32 v15, v16, v34
	v_add_f32_e32 v39, v15, v36
	v_add_f32_e32 v15, v34, v36
	v_fmac_f32_e32 v16, -0.5, v15
	v_sub_f32_e32 v15, v33, v35
	v_mov_b32_e32 v33, v16
	v_fmac_f32_e32 v33, 0xbf5db3d7, v15
	v_fmac_f32_e32 v16, 0x3f5db3d7, v15
	;; [unrolled: 8-line block ×4, first 2 shown]
	v_add_f32_e32 v15, v1, v22
	v_add_f32_e32 v37, v15, v26
	v_add_f32_e32 v15, v22, v26
	v_fmac_f32_e32 v1, -0.5, v15
	v_sub_f32_e32 v21, v21, v25
	v_mov_b32_e32 v15, v1
	v_add_f32_e32 v22, v44, v42
	v_fmac_f32_e32 v15, 0xbf5db3d7, v21
	v_fmac_f32_e32 v1, 0x3f5db3d7, v21
	v_add_f32_e32 v21, v42, v3
	v_fmac_f32_e32 v3, -0.5, v22
	v_sub_f32_e32 v24, v41, v43
	v_mov_b32_e32 v22, v3
	s_waitcnt lgkmcnt(0)
	; wave barrier
	s_waitcnt lgkmcnt(0)
	ds_write2_b32 v11, v66, v38 offset1:1
	ds_write_b32 v11, v10 offset:8
	ds_write2_b32 v63, v39, v33 offset1:1
	ds_write_b32 v63, v16 offset:8
	;; [unrolled: 2-line block ×3, first 2 shown]
	v_add_u32_e32 v10, 0, v19
	v_sub_u32_e32 v65, 0, v65
	v_add_f32_e32 v21, v44, v21
	v_fmac_f32_e32 v22, 0xbf5db3d7, v24
	v_fmac_f32_e32 v3, 0x3f5db3d7, v24
	v_add_u32_e32 v29, 0x10e, v53
	ds_write2_b32 v10, v31, v23 offset1:1
	ds_write_b32 v10, v20 offset:8
	v_add_u32_e32 v10, 0, v17
	ds_write2_b32 v10, v37, v15 offset1:1
	ds_write_b32 v10, v1 offset:8
	s_and_saveexec_b64 s[6:7], s[0:1]
	s_cbranch_execz .LBB0_21
; %bb.20:
	v_mad_u32_u24 v10, v29, 12, 0
	ds_write2_b32 v10, v21, v22 offset1:1
	ds_write_b32 v10, v3 offset:8
.LBB0_21:
	s_or_b64 exec, exec, s[6:7]
	v_add_u32_e32 v16, 0x200, v58
	s_waitcnt lgkmcnt(0)
	; wave barrier
	s_waitcnt lgkmcnt(0)
	ds_read2_b32 v[25:26], v16 offset0:70 offset1:160
	v_add_u32_e32 v16, 0x400, v58
	ds_read2_b32 v[23:24], v16 offset0:86 offset1:176
	v_add_u32_e32 v16, 0x600, v58
	v_add_u32_e32 v28, 0x800, v58
	;; [unrolled: 1-line block ×3, first 2 shown]
	ds_read2_b32 v[10:11], v58 offset1:144
	ds_read2_b32 v[19:20], v16 offset0:102 offset1:192
	ds_read2_b32 v[17:18], v28 offset0:118 offset1:208
	ds_read_b32 v27, v34
	ds_read_b32 v30, v58 offset:3096
	s_and_saveexec_b64 s[6:7], s[2:3]
	s_cbranch_execz .LBB0_23
; %bb.22:
	v_add_u32_e32 v3, 0x300, v58
	v_sub_u32_e32 v1, v62, v64
	ds_read2_b32 v[15:16], v3 offset0:60 offset1:204
	ds_read2_b32 v[21:22], v28 offset0:28 offset1:172
	ds_read_b32 v37, v1
	ds_read_b32 v3, v58 offset:3312
	s_waitcnt lgkmcnt(3)
	v_mov_b32_e32 v1, v16
.LBB0_23:
	s_or_b64 exec, exec, s[6:7]
	s_movk_i32 s6, 0xab
	v_mul_lo_u16_sdwa v16, v53, s6 dst_sel:DWORD dst_unused:UNUSED_PAD src0_sel:BYTE_0 src1_sel:DWORD
	v_lshrrev_b16_e32 v66, 9, v16
	v_mul_lo_u16_e32 v16, 3, v66
	v_sub_u16_e32 v67, v53, v16
	v_mov_b32_e32 v31, 5
	v_mul_u32_u24_sdwa v16, v67, v31 dst_sel:DWORD dst_unused:UNUSED_PAD src0_sel:BYTE_0 src1_sel:DWORD
	v_lshlrev_b32_e32 v16, 3, v16
	global_load_dwordx2 v[35:36], v16, s[8:9] offset:32
	global_load_dwordx4 v[38:41], v16, s[8:9] offset:16
	global_load_dwordx4 v[62:65], v16, s[8:9]
	s_waitcnt vmcnt(1)
	v_mul_f32_e32 v32, v48, v41
	s_waitcnt vmcnt(0) lgkmcnt(4)
	v_mul_f32_e32 v16, v11, v63
	v_fma_f32 v16, v9, v62, -v16
	v_mul_f32_e32 v9, v9, v63
	v_mul_f32_e32 v28, v52, v65
	v_fmac_f32_e32 v9, v11, v62
	v_mul_f32_e32 v11, v26, v65
	v_fmac_f32_e32 v28, v26, v64
	v_mul_f32_e32 v26, v24, v39
	v_fma_f32 v11, v52, v64, -v11
	v_fma_f32 v52, v50, v38, -v26
	v_mul_f32_e32 v26, v50, v39
	v_fmac_f32_e32 v26, v24, v38
	s_waitcnt lgkmcnt(3)
	v_mul_f32_e32 v24, v20, v41
	v_fmac_f32_e32 v32, v20, v40
	s_waitcnt lgkmcnt(2)
	v_mul_f32_e32 v20, v18, v36
	v_fma_f32 v50, v46, v35, -v20
	v_mul_f32_e32 v20, v46, v36
	v_fmac_f32_e32 v20, v18, v35
	v_mul_lo_u16_sdwa v18, v54, s6 dst_sel:DWORD dst_unused:UNUSED_PAD src0_sel:BYTE_0 src1_sel:DWORD
	v_lshrrev_b16_e32 v68, 9, v18
	v_mul_lo_u16_e32 v18, 3, v68
	v_sub_u16_e32 v69, v54, v18
	v_mul_u32_u24_sdwa v18, v69, v31 dst_sel:DWORD dst_unused:UNUSED_PAD src0_sel:BYTE_0 src1_sel:DWORD
	v_lshlrev_b32_e32 v18, 3, v18
	v_fma_f32 v24, v48, v40, -v24
	global_load_dwordx2 v[42:43], v18, s[8:9] offset:32
	global_load_dwordx4 v[38:41], v18, s[8:9] offset:16
	global_load_dwordx4 v[62:65], v18, s[8:9]
	s_waitcnt vmcnt(0)
	v_mul_f32_e32 v33, v51, v63
	v_mul_f32_e32 v36, v49, v65
	;; [unrolled: 1-line block ×3, first 2 shown]
	v_fmac_f32_e32 v33, v25, v62
	v_mul_f32_e32 v25, v23, v65
	v_fmac_f32_e32 v36, v23, v64
	v_mul_f32_e32 v23, v19, v39
	v_fma_f32 v18, v51, v62, -v18
	v_fma_f32 v51, v47, v38, -v23
	v_mul_f32_e32 v23, v47, v39
	v_mul_f32_e32 v39, v45, v41
	v_fma_f32 v35, v49, v64, -v25
	v_fmac_f32_e32 v23, v19, v38
	v_mul_f32_e32 v19, v17, v41
	v_fmac_f32_e32 v39, v17, v40
	s_waitcnt lgkmcnt(0)
	v_mul_f32_e32 v17, v30, v43
	v_mul_lo_u16_sdwa v25, v55, s6 dst_sel:DWORD dst_unused:UNUSED_PAD src0_sel:BYTE_0 src1_sel:DWORD
	v_fma_f32 v62, v61, v42, -v17
	v_mul_f32_e32 v17, v61, v43
	v_lshrrev_b16_e32 v25, 9, v25
	v_fmac_f32_e32 v17, v30, v42
	v_mul_lo_u16_e32 v30, 3, v25
	v_sub_u16_e32 v38, v55, v30
	v_mul_u32_u24_sdwa v30, v38, v31 dst_sel:DWORD dst_unused:UNUSED_PAD src0_sel:BYTE_0 src1_sel:DWORD
	v_fma_f32 v19, v45, v40, -v19
	v_lshlrev_b32_e32 v40, 3, v30
	global_load_dwordx2 v[30:31], v40, s[8:9] offset:32
	global_load_dwordx4 v[42:45], v40, s[8:9] offset:16
	global_load_dwordx4 v[46:49], v40, s[8:9]
	s_waitcnt lgkmcnt(0)
	; wave barrier
	s_waitcnt vmcnt(0)
	v_mul_f32_e32 v40, v15, v47
	v_fma_f32 v41, v14, v46, -v40
	v_mul_f32_e32 v40, v14, v47
	v_mul_f32_e32 v14, v1, v49
	v_fma_f32 v14, v0, v48, -v14
	v_mul_f32_e32 v0, v0, v49
	v_fmac_f32_e32 v0, v1, v48
	v_mul_f32_e32 v1, v21, v43
	v_fmac_f32_e32 v40, v15, v46
	v_fma_f32 v15, v12, v42, -v1
	v_mul_f32_e32 v1, v12, v43
	v_mul_f32_e32 v12, v22, v45
	v_fmac_f32_e32 v1, v21, v42
	v_fma_f32 v12, v13, v44, -v12
	v_mul_f32_e32 v21, v13, v45
	v_mul_f32_e32 v13, v3, v31
	v_fma_f32 v13, v2, v30, -v13
	v_mul_f32_e32 v2, v2, v31
	v_fmac_f32_e32 v2, v3, v30
	v_add_f32_e32 v3, v8, v11
	v_add_f32_e32 v30, v3, v24
	;; [unrolled: 1-line block ×3, first 2 shown]
	v_fmac_f32_e32 v8, -0.5, v3
	v_sub_f32_e32 v3, v28, v32
	v_mov_b32_e32 v31, v8
	v_fmac_f32_e32 v31, 0x3f5db3d7, v3
	v_fmac_f32_e32 v8, 0xbf5db3d7, v3
	v_add_f32_e32 v3, v16, v52
	v_add_f32_e32 v43, v3, v50
	;; [unrolled: 1-line block ×3, first 2 shown]
	v_fmac_f32_e32 v16, -0.5, v3
	v_fmac_f32_e32 v21, v22, v44
	v_sub_f32_e32 v22, v26, v20
	v_mov_b32_e32 v3, v16
	v_fmac_f32_e32 v3, 0x3f5db3d7, v22
	v_fmac_f32_e32 v16, 0xbf5db3d7, v22
	v_add_f32_e32 v22, v26, v20
	v_fma_f32 v22, -0.5, v22, v9
	v_sub_f32_e32 v44, v52, v50
	v_mov_b32_e32 v42, v22
	v_fmac_f32_e32 v22, 0x3f5db3d7, v44
	v_mul_f32_e32 v45, -0.5, v16
	v_fmac_f32_e32 v45, 0x3f5db3d7, v22
	v_fmac_f32_e32 v42, 0xbf5db3d7, v44
	v_add_f32_e32 v64, v8, v45
	v_sub_f32_e32 v71, v8, v45
	v_add_f32_e32 v8, v60, v35
	v_add_f32_e32 v46, v30, v43
	v_mul_f32_e32 v44, 0x3f5db3d7, v42
	v_sub_f32_e32 v65, v30, v43
	v_add_f32_e32 v30, v8, v19
	v_add_f32_e32 v8, v35, v19
	v_fmac_f32_e32 v44, 0.5, v3
	v_fmac_f32_e32 v60, -0.5, v8
	v_add_f32_e32 v63, v31, v44
	v_sub_f32_e32 v70, v31, v44
	v_sub_f32_e32 v8, v36, v39
	v_mov_b32_e32 v31, v60
	v_fmac_f32_e32 v31, 0x3f5db3d7, v8
	v_fmac_f32_e32 v60, 0xbf5db3d7, v8
	v_add_f32_e32 v8, v18, v51
	v_add_f32_e32 v44, v8, v62
	;; [unrolled: 1-line block ×3, first 2 shown]
	v_fmac_f32_e32 v18, -0.5, v8
	v_sub_f32_e32 v43, v23, v17
	v_mov_b32_e32 v8, v18
	v_fmac_f32_e32 v8, 0x3f5db3d7, v43
	v_fmac_f32_e32 v18, 0xbf5db3d7, v43
	v_add_f32_e32 v43, v23, v17
	v_fma_f32 v43, -0.5, v43, v33
	v_sub_f32_e32 v47, v51, v62
	v_mov_b32_e32 v45, v43
	v_add_f32_e32 v72, v30, v44
	v_sub_f32_e32 v75, v30, v44
	v_add_f32_e32 v30, v14, v12
	v_fmac_f32_e32 v45, 0xbf5db3d7, v47
	v_fma_f32 v51, -0.5, v30, v59
	v_fmac_f32_e32 v43, 0x3f5db3d7, v47
	v_mul_f32_e32 v47, 0x3f5db3d7, v45
	v_sub_f32_e32 v30, v0, v21
	v_mov_b32_e32 v52, v51
	v_fmac_f32_e32 v47, 0.5, v8
	v_mul_f32_e32 v48, -0.5, v18
	v_fmac_f32_e32 v52, 0x3f5db3d7, v30
	v_fmac_f32_e32 v51, 0xbf5db3d7, v30
	v_add_f32_e32 v30, v15, v13
	v_add_f32_e32 v73, v31, v47
	v_fmac_f32_e32 v48, 0x3f5db3d7, v43
	v_sub_f32_e32 v76, v31, v47
	v_fma_f32 v47, -0.5, v30, v41
	v_add_f32_e32 v74, v60, v48
	v_sub_f32_e32 v77, v60, v48
	v_sub_f32_e32 v30, v1, v2
	v_mov_b32_e32 v48, v47
	v_fmac_f32_e32 v48, 0x3f5db3d7, v30
	v_fmac_f32_e32 v47, 0xbf5db3d7, v30
	v_add_f32_e32 v30, v1, v2
	v_fma_f32 v49, -0.5, v30, v40
	v_sub_f32_e32 v30, v15, v13
	v_mov_b32_e32 v50, v49
	v_mov_b32_e32 v62, 2
	v_fmac_f32_e32 v50, 0xbf5db3d7, v30
	v_mul_u32_u24_e32 v44, 0x48, v66
	v_lshlrev_b32_sdwa v66, v62, v67 dst_sel:DWORD dst_unused:UNUSED_PAD src0_sel:DWORD src1_sel:BYTE_0
	v_fmac_f32_e32 v49, 0x3f5db3d7, v30
	v_mul_f32_e32 v60, 0x3f5db3d7, v50
	v_mul_f32_e32 v61, -0.5, v47
	v_add3_u32 v44, 0, v44, v66
	v_fmac_f32_e32 v60, 0.5, v48
	v_fmac_f32_e32 v61, 0x3f5db3d7, v49
	ds_write2_b32 v44, v46, v63 offset1:3
	ds_write2_b32 v44, v64, v65 offset0:6 offset1:9
	ds_write2_b32 v44, v70, v71 offset0:12 offset1:15
	v_mul_u32_u24_e32 v46, 0x48, v68
	v_lshlrev_b32_sdwa v63, v62, v69 dst_sel:DWORD dst_unused:UNUSED_PAD src0_sel:DWORD src1_sel:BYTE_0
	v_sub_f32_e32 v30, v52, v60
	v_sub_f32_e32 v31, v51, v61
	v_add3_u32 v46, 0, v46, v63
	ds_write2_b32 v46, v72, v73 offset1:3
	ds_write2_b32 v46, v74, v75 offset0:6 offset1:9
	ds_write2_b32 v46, v76, v77 offset0:12 offset1:15
	s_and_saveexec_b64 s[6:7], s[2:3]
	s_cbranch_execz .LBB0_25
; %bb.24:
	v_add_f32_e32 v59, v59, v14
	v_add_f32_e32 v15, v41, v15
	;; [unrolled: 1-line block ×4, first 2 shown]
	v_sub_f32_e32 v15, v59, v13
	v_add_f32_e32 v41, v51, v61
	v_add_f32_e32 v51, v52, v60
	;; [unrolled: 1-line block ×3, first 2 shown]
	v_mul_u32_u24_e32 v52, 0x48, v25
	v_lshlrev_b32_sdwa v59, v62, v38 dst_sel:DWORD dst_unused:UNUSED_PAD src0_sel:DWORD src1_sel:BYTE_0
	v_add3_u32 v52, 0, v52, v59
	ds_write2_b32 v52, v13, v51 offset1:3
	ds_write2_b32 v52, v41, v15 offset0:6 offset1:9
	ds_write2_b32 v52, v30, v31 offset0:12 offset1:15
.LBB0_25:
	s_or_b64 exec, exec, s[6:7]
	v_add_f32_e32 v15, v28, v32
	v_add_f32_e32 v13, v10, v28
	v_fmac_f32_e32 v10, -0.5, v15
	v_add_f32_e32 v9, v9, v26
	v_add_f32_e32 v13, v13, v32
	v_sub_f32_e32 v11, v11, v24
	v_mov_b32_e32 v15, v10
	v_add_f32_e32 v9, v9, v20
	v_mul_f32_e32 v3, 0xbf5db3d7, v3
	v_fmac_f32_e32 v15, 0xbf5db3d7, v11
	v_fmac_f32_e32 v10, 0x3f5db3d7, v11
	v_add_f32_e32 v51, v13, v9
	v_fmac_f32_e32 v3, 0.5, v42
	v_mul_f32_e32 v11, -0.5, v22
	v_sub_f32_e32 v60, v13, v9
	v_add_f32_e32 v9, v36, v39
	v_add_f32_e32 v52, v15, v3
	v_fmac_f32_e32 v11, 0xbf5db3d7, v16
	v_sub_f32_e32 v61, v15, v3
	v_add_f32_e32 v3, v27, v36
	v_fmac_f32_e32 v27, -0.5, v9
	v_add_f32_e32 v59, v10, v11
	v_sub_f32_e32 v62, v10, v11
	v_sub_f32_e32 v9, v35, v19
	v_mov_b32_e32 v10, v27
	v_fmac_f32_e32 v10, 0xbf5db3d7, v9
	v_fmac_f32_e32 v27, 0x3f5db3d7, v9
	v_add_f32_e32 v9, v33, v23
	v_add_f32_e32 v3, v3, v39
	;; [unrolled: 1-line block ×3, first 2 shown]
	v_mul_f32_e32 v11, -0.5, v43
	v_add_f32_e32 v63, v3, v9
	v_mul_f32_e32 v8, 0xbf5db3d7, v8
	v_fmac_f32_e32 v11, 0xbf5db3d7, v18
	v_sub_f32_e32 v66, v3, v9
	v_add_f32_e32 v3, v0, v21
	v_fmac_f32_e32 v8, 0.5, v45
	v_add_f32_e32 v65, v27, v11
	v_sub_f32_e32 v68, v27, v11
	v_fma_f32 v3, -0.5, v3, v37
	s_waitcnt lgkmcnt(0)
	; wave barrier
	s_waitcnt lgkmcnt(0)
	v_lshl_add_u32 v27, v55, 2, 0
	v_lshl_add_u32 v28, v56, 2, 0
	;; [unrolled: 1-line block ×3, first 2 shown]
	ds_read_b32 v26, v58
	ds_read_b32 v42, v27
	;; [unrolled: 1-line block ×4, first 2 shown]
	v_add_f32_e32 v64, v10, v8
	v_sub_f32_e32 v67, v10, v8
	v_sub_f32_e32 v8, v14, v12
	v_mov_b32_e32 v10, v3
	v_add_u32_e32 v20, 0x400, v58
	v_add_u32_e32 v23, 0x800, v58
	;; [unrolled: 1-line block ×3, first 2 shown]
	v_fmac_f32_e32 v10, 0xbf5db3d7, v8
	v_fmac_f32_e32 v3, 0x3f5db3d7, v8
	v_lshl_add_u32 v35, v53, 2, 0
	ds_read_b32 v43, v34
	ds_read_b32 v39, v35 offset:1080
	ds_read2_b32 v[18:19], v20 offset0:68 offset1:122
	ds_read2_b32 v[8:9], v20 offset0:176 offset1:230
	;; [unrolled: 1-line block ×5, first 2 shown]
	v_mul_f32_e32 v11, 0xbf5db3d7, v48
	v_mul_f32_e32 v45, -0.5, v49
	v_fmac_f32_e32 v11, 0.5, v50
	v_fmac_f32_e32 v45, 0xbf5db3d7, v47
	v_sub_f32_e32 v32, v10, v11
	v_sub_f32_e32 v33, v3, v45
	s_waitcnt lgkmcnt(0)
	; wave barrier
	s_waitcnt lgkmcnt(0)
	ds_write2_b32 v44, v51, v52 offset1:3
	ds_write2_b32 v44, v59, v60 offset0:6 offset1:9
	ds_write2_b32 v44, v61, v62 offset0:12 offset1:15
	ds_write2_b32 v46, v63, v64 offset1:3
	ds_write2_b32 v46, v65, v66 offset0:6 offset1:9
	ds_write2_b32 v46, v67, v68 offset0:12 offset1:15
	s_and_saveexec_b64 s[6:7], s[2:3]
	s_cbranch_execz .LBB0_27
; %bb.26:
	v_add_f32_e32 v0, v37, v0
	v_add_f32_e32 v1, v40, v1
	;; [unrolled: 1-line block ×5, first 2 shown]
	v_mov_b32_e32 v11, 2
	v_add_f32_e32 v2, v0, v1
	v_sub_f32_e32 v0, v0, v1
	v_mul_u32_u24_e32 v1, 0x48, v25
	v_lshlrev_b32_sdwa v11, v11, v38 dst_sel:DWORD dst_unused:UNUSED_PAD src0_sel:DWORD src1_sel:BYTE_0
	v_add3_u32 v1, 0, v1, v11
	v_add_f32_e32 v3, v3, v45
	ds_write2_b32 v1, v2, v10 offset1:3
	ds_write2_b32 v1, v3, v0 offset0:6 offset1:9
	ds_write2_b32 v1, v32, v33 offset0:12 offset1:15
.LBB0_27:
	s_or_b64 exec, exec, s[6:7]
	v_mov_b32_e32 v0, 57
	v_mul_lo_u16_sdwa v0, v53, v0 dst_sel:DWORD dst_unused:UNUSED_PAD src0_sel:BYTE_0 src1_sel:DWORD
	v_lshrrev_b16_e32 v71, 10, v0
	v_mul_lo_u16_e32 v0, 18, v71
	v_sub_u16_e32 v72, v53, v0
	v_mov_b32_e32 v0, 15
	v_mul_u32_u24_sdwa v0, v72, v0 dst_sel:DWORD dst_unused:UNUSED_PAD src0_sel:BYTE_0 src1_sel:DWORD
	v_lshlrev_b32_e32 v73, 3, v0
	s_waitcnt lgkmcnt(0)
	; wave barrier
	s_waitcnt lgkmcnt(0)
	ds_read_b32 v21, v58
	ds_read_b32 v25, v34
	;; [unrolled: 1-line block ×5, first 2 shown]
	ds_read_b32 v70, v35 offset:1080
	ds_read2_b32 v[37:38], v20 offset0:68 offset1:122
	ds_read2_b32 v[10:11], v20 offset0:176 offset1:230
	;; [unrolled: 1-line block ×5, first 2 shown]
	global_load_dwordx4 v[0:3], v73, s[8:9] offset:168
	global_load_dwordx4 v[44:47], v73, s[8:9] offset:152
	;; [unrolled: 1-line block ×4, first 2 shown]
	s_waitcnt vmcnt(0) lgkmcnt(9)
	v_mul_f32_e32 v74, v25, v60
	v_mul_f32_e32 v60, v43, v60
	v_fma_f32 v74, v43, v59, -v74
	v_fmac_f32_e32 v60, v25, v59
	v_mul_f32_e32 v59, v42, v62
	s_waitcnt lgkmcnt(8)
	v_mul_f32_e32 v25, v40, v62
	v_fmac_f32_e32 v59, v40, v61
	s_waitcnt lgkmcnt(7)
	v_mul_f32_e32 v40, v52, v49
	v_fma_f32 v25, v42, v61, -v25
	v_fma_f32 v61, v41, v48, -v40
	v_mul_f32_e32 v49, v41, v49
	s_waitcnt lgkmcnt(6)
	v_mul_f32_e32 v40, v69, v51
	v_fmac_f32_e32 v49, v52, v48
	v_fma_f32 v52, v24, v50, -v40
	v_mul_f32_e32 v24, v24, v51
	s_waitcnt lgkmcnt(5)
	v_mul_f32_e32 v40, v70, v45
	v_fmac_f32_e32 v24, v69, v50
	v_fma_f32 v50, v39, v44, -v40
	v_mul_f32_e32 v51, v39, v45
	s_waitcnt lgkmcnt(4)
	v_mul_f32_e32 v39, v37, v47
	v_fma_f32 v62, v18, v46, -v39
	v_mul_f32_e32 v18, v18, v47
	v_fmac_f32_e32 v18, v37, v46
	v_mul_f32_e32 v37, v38, v1
	v_fma_f32 v69, v19, v0, -v37
	v_mul_f32_e32 v19, v19, v1
	v_fmac_f32_e32 v19, v38, v0
	s_waitcnt lgkmcnt(3)
	v_mul_f32_e32 v0, v10, v3
	v_fmac_f32_e32 v51, v70, v44
	v_fma_f32 v70, v8, v2, -v0
	global_load_dwordx2 v[0:1], v73, s[8:9] offset:232
	global_load_dwordx4 v[37:40], v73, s[8:9] offset:216
	global_load_dwordx4 v[41:44], v73, s[8:9] offset:200
	;; [unrolled: 1-line block ×3, first 2 shown]
	s_waitcnt lgkmcnt(0)
	; wave barrier
	s_waitcnt vmcnt(0) lgkmcnt(0)
	v_mul_f32_e32 v73, v11, v46
	v_fma_f32 v73, v9, v45, -v73
	v_mul_f32_e32 v46, v9, v46
	v_mul_f32_e32 v9, v63, v48
	v_fmac_f32_e32 v46, v11, v45
	v_fma_f32 v11, v16, v47, -v9
	v_mul_f32_e32 v9, v64, v42
	v_fma_f32 v45, v17, v41, -v9
	v_mul_f32_e32 v17, v17, v42
	v_fmac_f32_e32 v17, v64, v41
	v_mul_f32_e32 v41, v66, v38
	v_mul_f32_e32 v9, v65, v44
	v_fma_f32 v41, v15, v37, -v41
	v_mul_f32_e32 v15, v15, v38
	v_mul_f32_e32 v38, v68, v1
	v_fma_f32 v9, v14, v43, -v9
	v_mul_f32_e32 v14, v14, v44
	v_fmac_f32_e32 v15, v66, v37
	v_mul_f32_e32 v37, v67, v40
	v_fma_f32 v38, v13, v0, -v38
	v_mul_f32_e32 v13, v13, v1
	v_mul_f32_e32 v16, v16, v48
	v_fmac_f32_e32 v14, v65, v43
	v_fma_f32 v37, v12, v39, -v37
	v_mul_f32_e32 v12, v12, v40
	v_fmac_f32_e32 v13, v68, v0
	v_sub_f32_e32 v0, v26, v70
	v_sub_f32_e32 v1, v52, v9
	v_fmac_f32_e32 v16, v63, v47
	v_fmac_f32_e32 v12, v67, v39
	v_fma_f32 v26, v26, 2.0, -v0
	v_sub_f32_e32 v9, v24, v14
	v_fma_f32 v14, v52, 2.0, -v1
	v_sub_f32_e32 v11, v25, v11
	v_sub_f32_e32 v37, v62, v37
	;; [unrolled: 1-line block ×4, first 2 shown]
	v_fma_f32 v39, v25, 2.0, -v11
	v_sub_f32_e32 v12, v18, v12
	v_fma_f32 v40, v62, 2.0, -v37
	v_sub_f32_e32 v44, v74, v73
	;; [unrolled: 2-line block ×3, first 2 shown]
	v_sub_f32_e32 v15, v51, v15
	v_sub_f32_e32 v45, v61, v45
	;; [unrolled: 1-line block ×7, first 2 shown]
	v_fma_f32 v25, v59, 2.0, -v16
	v_fma_f32 v18, v18, 2.0, -v12
	;; [unrolled: 1-line block ×11, first 2 shown]
	v_sub_f32_e32 v26, v39, v40
	v_sub_f32_e32 v12, v11, v12
	;; [unrolled: 1-line block ×3, first 2 shown]
	v_fma_f32 v18, v39, 2.0, -v26
	v_add_f32_e32 v37, v16, v37
	v_fma_f32 v11, v11, 2.0, -v12
	v_sub_f32_e32 v39, v42, v48
	v_sub_f32_e32 v40, v47, v50
	;; [unrolled: 1-line block ×3, first 2 shown]
	v_add_f32_e32 v41, v46, v41
	v_sub_f32_e32 v63, v51, v52
	v_sub_f32_e32 v19, v49, v19
	v_mov_b32_e32 v66, v0
	v_fma_f32 v16, v16, 2.0, -v37
	v_fma_f32 v61, v42, 2.0, -v39
	;; [unrolled: 1-line block ×7, first 2 shown]
	v_sub_f32_e32 v13, v45, v13
	v_add_f32_e32 v38, v17, v38
	v_sub_f32_e32 v18, v59, v18
	v_fmac_f32_e32 v66, 0xbf3504f3, v11
	v_fma_f32 v49, v45, 2.0, -v13
	v_fma_f32 v17, v17, 2.0, -v38
	;; [unrolled: 1-line block ×3, first 2 shown]
	v_mul_f32_e32 v50, 0x3f3504f3, v16
	v_fmac_f32_e32 v66, 0xbf3504f3, v16
	v_mov_b32_e32 v16, v60
	v_sub_f32_e32 v45, v61, v44
	v_sub_f32_e32 v59, v42, v46
	v_mov_b32_e32 v44, v47
	v_mov_b32_e32 v46, v62
	v_fmac_f32_e32 v16, 0x3f3504f3, v12
	v_fmac_f32_e32 v44, 0xbf3504f3, v49
	;; [unrolled: 1-line block ×6, first 2 shown]
	v_mov_b32_e32 v49, v41
	v_fma_f32 v0, v0, 2.0, -v66
	v_mul_f32_e32 v51, 0x3f3504f3, v12
	v_mul_f32_e32 v52, 0x3f3504f3, v37
	v_fma_f32 v12, v60, 2.0, -v16
	v_fma_f32 v37, v61, 2.0, -v45
	;; [unrolled: 1-line block ×3, first 2 shown]
	v_mov_b32_e32 v47, v15
	v_fmac_f32_e32 v49, 0x3f3504f3, v38
	v_mul_f32_e32 v48, 0x3f3504f3, v11
	v_sub_f32_e32 v11, v14, v43
	v_fmac_f32_e32 v47, 0x3f3504f3, v13
	v_fmac_f32_e32 v49, 0x3f3504f3, v13
	v_sub_f32_e32 v13, v64, v37
	v_mov_b32_e32 v37, v0
	v_mov_b32_e32 v69, v66
	v_fma_f32 v14, v14, 2.0, -v11
	v_fma_f32 v61, v62, 2.0, -v46
	v_sub_f32_e32 v17, v39, v19
	v_fmac_f32_e32 v37, 0xbf6c835e, v60
	v_fmac_f32_e32 v69, 0x3ec3ef15, v44
	v_add_f32_e32 v19, v40, v63
	v_fma_f32 v39, v39, 2.0, -v17
	v_fmac_f32_e32 v47, 0xbf3504f3, v38
	v_fma_f32 v63, v41, 2.0, -v49
	v_fmac_f32_e32 v37, 0xbec3ef15, v61
	v_mov_b32_e32 v41, v14
	v_fmac_f32_e32 v69, 0xbf6c835e, v46
	v_mov_b32_e32 v73, v11
	v_fma_f32 v62, v15, 2.0, -v47
	v_fma_f32 v15, v64, 2.0, -v13
	v_fma_f32 v38, v0, 2.0, -v37
	v_mul_f32_e32 v64, 0x3f3504f3, v39
	v_fmac_f32_e32 v41, 0xbf3504f3, v39
	v_mov_b32_e32 v39, v12
	v_fma_f32 v70, v66, 2.0, -v69
	v_mul_f32_e32 v66, 0x3f3504f3, v17
	v_fmac_f32_e32 v73, 0x3f3504f3, v17
	v_mov_b32_e32 v0, v16
	v_mul_u32_u24_e32 v17, 0x120, v71
	v_fma_f32 v40, v40, 2.0, -v19
	v_fmac_f32_e32 v39, 0xbec3ef15, v62
	v_fmac_f32_e32 v0, 0x3f6c835e, v47
	v_or_b32_sdwa v17, v17, v72 dst_sel:DWORD dst_unused:UNUSED_PAD src0_sel:DWORD src1_sel:BYTE_0
	v_mul_f32_e32 v65, 0x3f3504f3, v40
	v_fmac_f32_e32 v41, 0xbf3504f3, v40
	v_fmac_f32_e32 v39, 0xbf6c835e, v63
	v_sub_f32_e32 v40, v18, v59
	v_fmac_f32_e32 v73, 0xbf3504f3, v19
	v_fmac_f32_e32 v0, 0xbec3ef15, v49
	v_lshl_add_u32 v68, v17, 2, 0
	v_fma_f32 v14, v14, 2.0, -v41
	v_fma_f32 v12, v12, 2.0, -v39
	;; [unrolled: 1-line block ×5, first 2 shown]
	ds_write2_b32 v68, v15, v38 offset1:18
	ds_write2_b32 v68, v14, v12 offset0:36 offset1:54
	ds_write2_b32 v68, v18, v70 offset0:72 offset1:90
	;; [unrolled: 1-line block ×6, first 2 shown]
	v_add_u32_e32 v69, 0x200, v68
	v_add_u32_e32 v70, 0x600, v58
	v_mul_f32_e32 v67, 0x3f3504f3, v19
	ds_write2_b32 v69, v73, v0 offset0:124 offset1:142
	s_waitcnt lgkmcnt(0)
	; wave barrier
	s_waitcnt lgkmcnt(0)
	ds_read_b32 v37, v58
	ds_read2_b32 v[13:14], v20 offset0:32 offset1:86
	ds_read2_b32 v[11:12], v70 offset0:120 offset1:192
	ds_read_b32 v38, v34
	ds_read2_b32 v[15:16], v23 offset0:118 offset1:172
	ds_read_b32 v39, v27
	;; [unrolled: 2-line block ×4, first 2 shown]
	s_and_saveexec_b64 s[2:3], s[0:1]
	s_cbranch_execz .LBB0_29
; %bb.28:
	ds_read_b32 v30, v58 offset:2232
	ds_read_b32 v0, v35 offset:1080
	;; [unrolled: 1-line block ×3, first 2 shown]
.LBB0_29:
	s_or_b64 exec, exec, s[2:3]
	v_mul_f32_e32 v3, v8, v3
	v_fmac_f32_e32 v3, v10, v2
	v_sub_f32_e32 v2, v21, v3
	v_add_f32_e32 v1, v2, v1
	v_add_f32_e32 v22, v1, v52
	v_fma_f32 v3, v21, 2.0, -v2
	v_fma_f32 v8, v24, 2.0, -v9
	v_add_f32_e32 v22, v51, v22
	v_sub_f32_e32 v8, v3, v8
	v_fma_f32 v2, v2, 2.0, -v1
	v_fma_f32 v1, v1, 2.0, -v22
	;; [unrolled: 1-line block ×4, first 2 shown]
	v_sub_f32_e32 v10, v2, v50
	v_add_f32_e32 v21, v8, v26
	v_mov_b32_e32 v26, v1
	v_sub_f32_e32 v9, v3, v9
	v_add_f32_e32 v10, v48, v10
	v_fmac_f32_e32 v26, 0xbec3ef15, v63
	v_fma_f32 v2, v2, 2.0, -v10
	v_fmac_f32_e32 v26, 0x3f6c835e, v62
	v_add_f32_e32 v43, v9, v45
	v_mov_b32_e32 v45, v10
	v_fma_f32 v23, v42, 2.0, -v59
	v_mov_b32_e32 v24, v2
	v_fma_f32 v42, v1, 2.0, -v26
	v_fmac_f32_e32 v45, 0x3ec3ef15, v46
	v_add_f32_e32 v1, v21, v67
	v_fma_f32 v3, v3, 2.0, -v9
	v_fma_f32 v8, v8, 2.0, -v21
	v_fmac_f32_e32 v24, 0xbf6c835e, v61
	v_fmac_f32_e32 v45, 0x3f6c835e, v44
	v_add_f32_e32 v44, v66, v1
	v_mov_b32_e32 v1, v22
	v_sub_f32_e32 v23, v3, v23
	v_fmac_f32_e32 v24, 0x3ec3ef15, v60
	v_sub_f32_e32 v25, v8, v65
	v_fmac_f32_e32 v1, 0x3f6c835e, v49
	v_fma_f32 v3, v3, 2.0, -v23
	v_fma_f32 v2, v2, 2.0, -v24
	v_add_f32_e32 v25, v64, v25
	v_fmac_f32_e32 v1, 0x3ec3ef15, v47
	v_fma_f32 v8, v8, 2.0, -v25
	v_fma_f32 v9, v9, 2.0, -v43
	;; [unrolled: 1-line block ×5, first 2 shown]
	s_waitcnt lgkmcnt(0)
	; wave barrier
	s_waitcnt lgkmcnt(0)
	ds_write2_b32 v68, v3, v2 offset1:18
	ds_write2_b32 v68, v8, v42 offset0:36 offset1:54
	ds_write2_b32 v68, v9, v10 offset0:72 offset1:90
	;; [unrolled: 1-line block ×7, first 2 shown]
	v_add_u32_e32 v2, 0x400, v58
	v_add_u32_e32 v3, 0x800, v58
	s_waitcnt lgkmcnt(0)
	; wave barrier
	s_waitcnt lgkmcnt(0)
	ds_read2_b32 v[21:22], v2 offset0:32 offset1:86
	ds_read2_b32 v[8:9], v70 offset0:120 offset1:192
	;; [unrolled: 1-line block ×4, first 2 shown]
	ds_read_b32 v10, v58
	ds_read_b32 v42, v27
	;; [unrolled: 1-line block ×3, first 2 shown]
	v_add_u32_e32 v2, 0xa00, v58
	ds_read2_b32 v[27:28], v2 offset0:98 offset1:152
	ds_read_b32 v34, v34
	ds_read_b32 v36, v36
	s_and_saveexec_b64 s[2:3], s[0:1]
	s_cbranch_execz .LBB0_31
; %bb.30:
	ds_read_b32 v32, v58 offset:2232
	ds_read_b32 v1, v35 offset:1080
	;; [unrolled: 1-line block ×3, first 2 shown]
.LBB0_31:
	s_or_b64 exec, exec, s[2:3]
	s_and_saveexec_b64 s[2:3], vcc
	s_cbranch_execz .LBB0_34
; %bb.32:
	v_lshlrev_b32_e32 v2, 1, v57
	v_mov_b32_e32 v3, 0
	v_lshlrev_b64 v[44:45], 3, v[2:3]
	v_lshlrev_b32_e32 v2, 1, v56
	v_mov_b32_e32 v35, s9
	v_add_co_u32_e32 v44, vcc, s8, v44
	v_lshlrev_b64 v[48:49], 3, v[2:3]
	v_addc_co_u32_e32 v45, vcc, v35, v45, vcc
	v_add_co_u32_e32 v48, vcc, s8, v48
	v_lshlrev_b32_e32 v2, 1, v55
	global_load_dwordx4 v[44:47], v[44:45], off offset:2280
	v_addc_co_u32_e32 v49, vcc, v35, v49, vcc
	global_load_dwordx4 v[48:51], v[48:49], off offset:2280
	v_lshlrev_b64 v[55:56], 3, v[2:3]
	v_mul_lo_u32 v52, s5, v6
	v_add_co_u32_e32 v55, vcc, s8, v55
	v_mul_lo_u32 v59, s4, v7
	v_mad_u64_u32 v[6:7], s[2:3], s4, v6, 0
	v_addc_co_u32_e32 v56, vcc, v35, v56, vcc
	global_load_dwordx4 v[55:58], v[55:56], off offset:2280
	v_lshlrev_b32_e32 v2, 1, v54
	v_add3_u32 v7, v7, v59, v52
	v_lshlrev_b64 v[59:60], 3, v[2:3]
	v_lshlrev_b32_e32 v2, 1, v53
	v_add_co_u32_e32 v59, vcc, s8, v59
	v_addc_co_u32_e32 v60, vcc, v35, v60, vcc
	global_load_dwordx4 v[59:62], v[59:60], off offset:2280
	v_lshlrev_b64 v[63:64], 3, v[2:3]
	s_mov_b32 s3, 0x38e38e39
	v_add_co_u32_e32 v63, vcc, s8, v63
	v_addc_co_u32_e32 v64, vcc, v35, v64, vcc
	global_load_dwordx4 v[63:66], v[63:64], off offset:2280
	v_lshlrev_b64 v[6:7], 3, v[6:7]
	v_lshlrev_b64 v[4:5], 3, v[4:5]
	s_movk_i32 s6, 0x360
	s_movk_i32 s2, 0x120
	s_waitcnt vmcnt(4) lgkmcnt(8)
	v_mul_f32_e32 v2, v8, v45
	s_waitcnt lgkmcnt(2)
	v_mul_f32_e32 v35, v28, v47
	v_mul_f32_e32 v45, v11, v45
	;; [unrolled: 1-line block ×3, first 2 shown]
	v_fma_f32 v2, v11, v44, -v2
	v_fma_f32 v11, v20, v46, -v35
	v_fmac_f32_e32 v45, v8, v44
	v_fmac_f32_e32 v47, v28, v46
	s_waitcnt vmcnt(3)
	v_mul_f32_e32 v8, v26, v49
	v_mul_f32_e32 v20, v27, v51
	;; [unrolled: 1-line block ×4, first 2 shown]
	v_sub_f32_e32 v46, v2, v11
	v_add_f32_e32 v35, v45, v47
	v_add_f32_e32 v49, v2, v11
	v_sub_f32_e32 v51, v45, v47
	s_waitcnt lgkmcnt(0)
	v_add_f32_e32 v45, v36, v45
	v_add_f32_e32 v2, v41, v2
	v_fma_f32 v8, v18, v48, -v8
	v_fma_f32 v20, v19, v50, -v20
	v_fmac_f32_e32 v28, v26, v48
	v_fmac_f32_e32 v44, v27, v50
	v_add_f32_e32 v27, v45, v47
	v_add_f32_e32 v26, v2, v11
	v_sub_f32_e32 v2, v8, v20
	v_add_f32_e32 v11, v28, v44
	v_add_f32_e32 v45, v8, v20
	v_sub_f32_e32 v47, v28, v44
	v_add_f32_e32 v28, v43, v28
	v_add_f32_e32 v8, v40, v8
	v_fma_f32 v19, -0.5, v35, v36
	v_fma_f32 v18, -0.5, v49, v41
	;; [unrolled: 1-line block ×3, first 2 shown]
	v_add_f32_e32 v44, v28, v44
	v_add_f32_e32 v43, v8, v20
	s_waitcnt vmcnt(2)
	v_mul_f32_e32 v20, v17, v56
	v_mul_f32_e32 v28, v16, v58
	v_mov_b32_e32 v36, v19
	v_mul_f32_e32 v8, v24, v58
	v_fmac_f32_e32 v20, v25, v55
	v_fmac_f32_e32 v28, v24, v57
	v_mul_f32_e32 v48, v25, v56
	v_fmac_f32_e32 v19, 0xbf5db3d7, v46
	v_fmac_f32_e32 v36, 0x3f5db3d7, v46
	v_mov_b32_e32 v46, v41
	v_fma_f32 v8, v16, v57, -v8
	v_add_f32_e32 v16, v20, v28
	v_fmac_f32_e32 v41, 0xbf5db3d7, v2
	v_fmac_f32_e32 v46, 0x3f5db3d7, v2
	v_fma_f32 v2, v17, v55, -v48
	v_fma_f32 v17, -0.5, v16, v42
	v_fma_f32 v40, -0.5, v45, v40
	v_sub_f32_e32 v11, v2, v8
	v_mov_b32_e32 v25, v17
	v_add_f32_e32 v16, v2, v8
	v_mov_b32_e32 v45, v40
	v_fmac_f32_e32 v25, 0x3f5db3d7, v11
	v_fma_f32 v16, -0.5, v16, v39
	v_fmac_f32_e32 v17, 0xbf5db3d7, v11
	v_add_f32_e32 v11, v42, v20
	v_fmac_f32_e32 v40, 0x3f5db3d7, v47
	v_fmac_f32_e32 v45, 0xbf5db3d7, v47
	v_sub_f32_e32 v47, v20, v28
	v_mov_b32_e32 v24, v16
	v_add_f32_e32 v48, v11, v28
	v_add_f32_e32 v2, v39, v2
	s_waitcnt vmcnt(1)
	v_mul_f32_e32 v20, v14, v60
	v_mul_f32_e32 v28, v15, v62
	v_fmac_f32_e32 v24, 0xbf5db3d7, v47
	v_fmac_f32_e32 v16, 0x3f5db3d7, v47
	v_add_f32_e32 v47, v2, v8
	v_mul_f32_e32 v2, v22, v60
	v_mul_f32_e32 v8, v23, v62
	v_fmac_f32_e32 v20, v22, v59
	v_fmac_f32_e32 v28, v23, v61
	v_fma_f32 v2, v14, v59, -v2
	v_fma_f32 v8, v15, v61, -v8
	v_add_f32_e32 v14, v20, v28
	v_fma_f32 v15, -0.5, v14, v34
	v_add_f32_e32 v14, v2, v8
	v_sub_f32_e32 v11, v2, v8
	v_mov_b32_e32 v23, v15
	v_fma_f32 v14, -0.5, v14, v38
	v_add_f32_e32 v2, v38, v2
	v_fmac_f32_e32 v23, 0x3f5db3d7, v11
	v_sub_f32_e32 v39, v20, v28
	v_mov_b32_e32 v22, v14
	v_fmac_f32_e32 v15, 0xbf5db3d7, v11
	v_add_f32_e32 v11, v34, v20
	v_add_f32_e32 v38, v2, v8
	s_waitcnt vmcnt(0)
	v_mul_f32_e32 v2, v21, v64
	v_fmac_f32_e32 v22, 0xbf5db3d7, v39
	v_fmac_f32_e32 v14, 0x3f5db3d7, v39
	v_add_f32_e32 v39, v11, v28
	v_fma_f32 v28, v13, v63, -v2
	v_mul_f32_e32 v13, v13, v64
	v_mul_f32_e32 v42, v12, v66
	v_fmac_f32_e32 v13, v21, v63
	v_fmac_f32_e32 v42, v9, v65
	v_mul_hi_u32 v20, v53, s3
	v_mul_f32_e32 v2, v9, v66
	v_add_f32_e32 v8, v13, v42
	v_fma_f32 v34, v12, v65, -v2
	v_fma_f32 v9, -0.5, v8, v10
	v_sub_f32_e32 v2, v28, v34
	v_mov_b32_e32 v12, v9
	v_fmac_f32_e32 v12, 0x3f5db3d7, v2
	v_fmac_f32_e32 v9, 0xbf5db3d7, v2
	v_lshrrev_b32_e32 v2, 6, v20
	v_mul_u32_u24_e32 v2, 0x120, v2
	v_sub_u32_e32 v54, v53, v2
	v_mad_u64_u32 v[20:21], s[4:5], s20, v54, 0
	v_add_f32_e32 v2, v10, v13
	v_mov_b32_e32 v35, v18
	v_add_f32_e32 v50, v2, v42
	v_mov_b32_e32 v2, v21
	v_fmac_f32_e32 v18, 0x3f5db3d7, v51
	v_fmac_f32_e32 v35, 0xbf5db3d7, v51
	v_add_f32_e32 v8, v28, v34
	v_mad_u64_u32 v[51:52], s[4:5], s21, v54, v[2:3]
	v_fma_f32 v8, -0.5, v8, v37
	v_sub_f32_e32 v49, v13, v42
	v_mov_b32_e32 v11, v8
	v_add_f32_e32 v2, v37, v28
	v_fmac_f32_e32 v11, 0xbf5db3d7, v49
	v_fmac_f32_e32 v8, 0x3f5db3d7, v49
	v_add_f32_e32 v49, v2, v34
	v_mov_b32_e32 v2, s15
	v_add_co_u32_e32 v10, vcc, s14, v6
	v_mov_b32_e32 v21, v51
	v_addc_co_u32_e32 v2, vcc, v2, v7, vcc
	v_add_u32_e32 v13, 0x120, v54
	v_mad_u64_u32 v[6:7], s[4:5], s20, v13, 0
	v_add_co_u32_e32 v4, vcc, v10, v4
	v_lshlrev_b64 v[20:21], 3, v[20:21]
	v_addc_co_u32_e32 v5, vcc, v2, v5, vcc
	v_add_co_u32_e32 v20, vcc, v4, v20
	v_addc_co_u32_e32 v21, vcc, v5, v21, vcc
	v_add_u32_e32 v10, 0x240, v54
	v_mov_b32_e32 v2, v7
	global_store_dwordx2 v[20:21], v[49:50], off
	v_mad_u64_u32 v[20:21], s[4:5], s20, v10, 0
	v_mad_u64_u32 v[51:52], s[4:5], s21, v13, v[2:3]
	v_mov_b32_e32 v2, v21
	v_mad_u64_u32 v[49:50], s[4:5], s21, v10, v[2:3]
	v_mov_b32_e32 v7, v51
	v_add_u32_e32 v2, 54, v53
	v_lshlrev_b64 v[6:7], 3, v[6:7]
	v_mul_hi_u32 v10, v2, s3
	v_add_co_u32_e32 v6, vcc, v4, v6
	v_addc_co_u32_e32 v7, vcc, v5, v7, vcc
	global_store_dwordx2 v[6:7], v[8:9], off
	v_lshrrev_b32_e32 v8, 6, v10
	v_mul_u32_u24_e32 v9, 0x120, v8
	v_sub_u32_e32 v2, v2, v9
	v_mad_u32_u24 v13, v8, s6, v2
	v_mad_u64_u32 v[8:9], s[4:5], s20, v13, 0
	v_mov_b32_e32 v21, v49
	v_lshlrev_b64 v[6:7], 3, v[20:21]
	v_mov_b32_e32 v2, v9
	v_mad_u64_u32 v[9:10], s[4:5], s21, v13, v[2:3]
	v_add_u32_e32 v10, 0x120, v13
	v_mad_u64_u32 v[20:21], s[4:5], s20, v10, 0
	v_add_co_u32_e32 v6, vcc, v4, v6
	v_addc_co_u32_e32 v7, vcc, v5, v7, vcc
	v_mov_b32_e32 v2, v21
	global_store_dwordx2 v[6:7], v[11:12], off
	v_lshlrev_b64 v[6:7], 3, v[8:9]
	v_mad_u64_u32 v[8:9], s[4:5], s21, v10, v[2:3]
	v_add_u32_e32 v10, 0x240, v13
	v_add_co_u32_e32 v6, vcc, v4, v6
	v_mov_b32_e32 v21, v8
	v_mad_u64_u32 v[8:9], s[4:5], s20, v10, 0
	v_addc_co_u32_e32 v7, vcc, v5, v7, vcc
	v_mov_b32_e32 v2, v9
	v_mad_u64_u32 v[9:10], s[4:5], s21, v10, v[2:3]
	v_add_u32_e32 v2, 0x6c, v53
	global_store_dwordx2 v[6:7], v[38:39], off
	v_lshlrev_b64 v[6:7], 3, v[20:21]
	v_mul_hi_u32 v10, v2, s3
	v_add_co_u32_e32 v6, vcc, v4, v6
	v_addc_co_u32_e32 v7, vcc, v5, v7, vcc
	global_store_dwordx2 v[6:7], v[14:15], off
	v_lshlrev_b64 v[6:7], 3, v[8:9]
	v_lshrrev_b32_e32 v8, 6, v10
	v_mul_u32_u24_e32 v9, 0x120, v8
	v_sub_u32_e32 v2, v2, v9
	v_mad_u32_u24 v12, v8, s6, v2
	v_mad_u64_u32 v[8:9], s[4:5], s20, v12, 0
	v_add_u32_e32 v13, 0x120, v12
	v_add_co_u32_e32 v6, vcc, v4, v6
	v_mov_b32_e32 v2, v9
	v_mad_u64_u32 v[9:10], s[4:5], s21, v12, v[2:3]
	v_mad_u64_u32 v[10:11], s[4:5], s20, v13, 0
	v_addc_co_u32_e32 v7, vcc, v5, v7, vcc
	v_mov_b32_e32 v2, v11
	global_store_dwordx2 v[6:7], v[22:23], off
	v_lshlrev_b64 v[6:7], 3, v[8:9]
	v_mad_u64_u32 v[8:9], s[4:5], s21, v13, v[2:3]
	v_add_co_u32_e32 v6, vcc, v4, v6
	v_addc_co_u32_e32 v7, vcc, v5, v7, vcc
	v_mov_b32_e32 v11, v8
	global_store_dwordx2 v[6:7], v[47:48], off
	v_lshlrev_b64 v[6:7], 3, v[10:11]
	v_add_u32_e32 v10, 0x240, v12
	v_mad_u64_u32 v[8:9], s[4:5], s20, v10, 0
	v_add_co_u32_e32 v6, vcc, v4, v6
	v_mov_b32_e32 v2, v9
	v_mad_u64_u32 v[9:10], s[4:5], s21, v10, v[2:3]
	v_add_u32_e32 v2, 0xa2, v53
	v_mul_hi_u32 v10, v2, s3
	v_addc_co_u32_e32 v7, vcc, v5, v7, vcc
	global_store_dwordx2 v[6:7], v[16:17], off
	v_lshlrev_b64 v[6:7], 3, v[8:9]
	v_lshrrev_b32_e32 v8, 6, v10
	v_mul_u32_u24_e32 v9, 0x120, v8
	v_sub_u32_e32 v2, v2, v9
	v_mad_u32_u24 v12, v8, s6, v2
	v_mad_u64_u32 v[8:9], s[4:5], s20, v12, 0
	v_add_u32_e32 v13, 0x120, v12
	v_add_co_u32_e32 v6, vcc, v4, v6
	v_mov_b32_e32 v2, v9
	v_mad_u64_u32 v[9:10], s[4:5], s21, v12, v[2:3]
	v_mad_u64_u32 v[10:11], s[4:5], s20, v13, 0
	v_addc_co_u32_e32 v7, vcc, v5, v7, vcc
	v_mov_b32_e32 v2, v11
	global_store_dwordx2 v[6:7], v[24:25], off
	v_lshlrev_b64 v[6:7], 3, v[8:9]
	v_mad_u64_u32 v[8:9], s[4:5], s21, v13, v[2:3]
	v_add_co_u32_e32 v6, vcc, v4, v6
	v_addc_co_u32_e32 v7, vcc, v5, v7, vcc
	v_mov_b32_e32 v11, v8
	global_store_dwordx2 v[6:7], v[43:44], off
	v_lshlrev_b64 v[6:7], 3, v[10:11]
	v_add_u32_e32 v10, 0x240, v12
	v_mad_u64_u32 v[8:9], s[4:5], s20, v10, 0
	v_add_u32_e32 v11, 0xd8, v53
	v_mul_hi_u32 v12, v11, s3
	v_mov_b32_e32 v2, v9
	v_mad_u64_u32 v[9:10], s[4:5], s21, v10, v[2:3]
	v_lshrrev_b32_e32 v2, 6, v12
	v_mul_u32_u24_e32 v10, 0x120, v2
	v_sub_u32_e32 v10, v11, v10
	v_mad_u32_u24 v12, v2, s6, v10
	v_mad_u64_u32 v[10:11], s[4:5], s20, v12, 0
	v_add_co_u32_e32 v6, vcc, v4, v6
	v_addc_co_u32_e32 v7, vcc, v5, v7, vcc
	v_mov_b32_e32 v2, v11
	global_store_dwordx2 v[6:7], v[40:41], off
	v_lshlrev_b64 v[6:7], 3, v[8:9]
	v_mad_u64_u32 v[8:9], s[4:5], s21, v12, v[2:3]
	v_add_co_u32_e32 v6, vcc, v4, v6
	v_addc_co_u32_e32 v7, vcc, v5, v7, vcc
	v_mov_b32_e32 v11, v8
	global_store_dwordx2 v[6:7], v[45:46], off
	v_lshlrev_b64 v[6:7], 3, v[10:11]
	v_add_u32_e32 v10, 0x120, v12
	v_mad_u64_u32 v[8:9], s[4:5], s20, v10, 0
	v_add_u32_e32 v12, 0x240, v12
	v_add_co_u32_e32 v6, vcc, v4, v6
	v_mov_b32_e32 v2, v9
	v_mad_u64_u32 v[9:10], s[4:5], s21, v10, v[2:3]
	v_mad_u64_u32 v[10:11], s[4:5], s20, v12, 0
	v_addc_co_u32_e32 v7, vcc, v5, v7, vcc
	v_mov_b32_e32 v2, v11
	global_store_dwordx2 v[6:7], v[26:27], off
	v_lshlrev_b64 v[6:7], 3, v[8:9]
	v_mad_u64_u32 v[8:9], s[4:5], s21, v12, v[2:3]
	v_add_co_u32_e32 v6, vcc, v4, v6
	v_addc_co_u32_e32 v7, vcc, v5, v7, vcc
	v_mov_b32_e32 v11, v8
	global_store_dwordx2 v[6:7], v[18:19], off
	v_lshlrev_b64 v[6:7], 3, v[10:11]
	v_add_co_u32_e32 v6, vcc, v4, v6
	v_addc_co_u32_e32 v7, vcc, v5, v7, vcc
	global_store_dwordx2 v[6:7], v[35:36], off
	v_add_u32_e32 v6, 0x10e, v53
	v_cmp_gt_u32_e32 vcc, s2, v6
	s_and_b64 exec, exec, vcc
	s_cbranch_execz .LBB0_34
; %bb.33:
	v_subrev_u32_e32 v2, 18, v53
	v_cndmask_b32_e64 v2, v2, v29, s[0:1]
	v_lshlrev_b32_e32 v2, 1, v2
	v_lshlrev_b64 v[2:3], 3, v[2:3]
	v_mov_b32_e32 v7, s9
	v_add_co_u32_e32 v2, vcc, s8, v2
	v_addc_co_u32_e32 v3, vcc, v7, v3, vcc
	global_load_dwordx4 v[7:10], v[2:3], off offset:2280
	v_mad_u64_u32 v[2:3], s[0:1], s20, v6, 0
	v_add_u32_e32 v17, 0x22e, v53
	v_mad_u64_u32 v[11:12], s[0:1], s20, v17, 0
	v_add_u32_e32 v18, 0x34e, v53
	v_mad_u64_u32 v[13:14], s[0:1], s20, v18, 0
	v_mad_u64_u32 v[15:16], s[0:1], s21, v6, v[3:4]
	v_mov_b32_e32 v3, v12
	v_mad_u64_u32 v[16:17], s[0:1], s21, v17, v[3:4]
	v_mov_b32_e32 v6, v14
	v_mov_b32_e32 v3, v15
	v_lshlrev_b64 v[2:3], 3, v[2:3]
	v_mov_b32_e32 v12, v16
	v_lshlrev_b64 v[11:12], 3, v[11:12]
	v_add_co_u32_e32 v2, vcc, v4, v2
	v_addc_co_u32_e32 v3, vcc, v5, v3, vcc
	v_add_co_u32_e32 v11, vcc, v4, v11
	v_addc_co_u32_e32 v12, vcc, v5, v12, vcc
	s_waitcnt vmcnt(0)
	v_mad_u64_u32 v[17:18], s[0:1], s21, v18, v[6:7]
	v_mul_f32_e32 v6, v32, v8
	v_mul_f32_e32 v8, v30, v8
	v_mov_b32_e32 v14, v17
	v_lshlrev_b64 v[13:14], 3, v[13:14]
	v_fma_f32 v6, v30, v7, -v6
	v_add_co_u32_e32 v4, vcc, v4, v13
	v_mul_f32_e32 v13, v33, v10
	v_mul_f32_e32 v10, v31, v10
	v_fmac_f32_e32 v8, v32, v7
	v_fma_f32 v7, v31, v9, -v13
	v_fmac_f32_e32 v10, v33, v9
	v_addc_co_u32_e32 v5, vcc, v5, v14, vcc
	v_add_f32_e32 v13, v6, v7
	v_sub_f32_e32 v14, v8, v10
	v_add_f32_e32 v15, v1, v8
	v_add_f32_e32 v8, v8, v10
	;; [unrolled: 1-line block ×3, first 2 shown]
	v_fmac_f32_e32 v0, -0.5, v13
	v_fmac_f32_e32 v1, -0.5, v8
	v_sub_f32_e32 v16, v6, v7
	v_add_f32_e32 v6, v9, v7
	v_mov_b32_e32 v8, v0
	v_mov_b32_e32 v9, v1
	v_add_f32_e32 v7, v15, v10
	v_fmac_f32_e32 v8, 0x3f5db3d7, v14
	v_fmac_f32_e32 v9, 0xbf5db3d7, v16
	;; [unrolled: 1-line block ×4, first 2 shown]
	global_store_dwordx2 v[2:3], v[6:7], off
	global_store_dwordx2 v[11:12], v[8:9], off
	;; [unrolled: 1-line block ×3, first 2 shown]
.LBB0_34:
	s_endpgm
	.section	.rodata,"a",@progbits
	.p2align	6, 0x0
	.amdhsa_kernel fft_rtc_fwd_len864_factors_3_6_16_3_wgs_54_tpt_54_halfLds_sp_op_CI_CI_sbrr_dirReg
		.amdhsa_group_segment_fixed_size 0
		.amdhsa_private_segment_fixed_size 0
		.amdhsa_kernarg_size 104
		.amdhsa_user_sgpr_count 6
		.amdhsa_user_sgpr_private_segment_buffer 1
		.amdhsa_user_sgpr_dispatch_ptr 0
		.amdhsa_user_sgpr_queue_ptr 0
		.amdhsa_user_sgpr_kernarg_segment_ptr 1
		.amdhsa_user_sgpr_dispatch_id 0
		.amdhsa_user_sgpr_flat_scratch_init 0
		.amdhsa_user_sgpr_private_segment_size 0
		.amdhsa_uses_dynamic_stack 0
		.amdhsa_system_sgpr_private_segment_wavefront_offset 0
		.amdhsa_system_sgpr_workgroup_id_x 1
		.amdhsa_system_sgpr_workgroup_id_y 0
		.amdhsa_system_sgpr_workgroup_id_z 0
		.amdhsa_system_sgpr_workgroup_info 0
		.amdhsa_system_vgpr_workitem_id 0
		.amdhsa_next_free_vgpr 78
		.amdhsa_next_free_sgpr 32
		.amdhsa_reserve_vcc 1
		.amdhsa_reserve_flat_scratch 0
		.amdhsa_float_round_mode_32 0
		.amdhsa_float_round_mode_16_64 0
		.amdhsa_float_denorm_mode_32 3
		.amdhsa_float_denorm_mode_16_64 3
		.amdhsa_dx10_clamp 1
		.amdhsa_ieee_mode 1
		.amdhsa_fp16_overflow 0
		.amdhsa_exception_fp_ieee_invalid_op 0
		.amdhsa_exception_fp_denorm_src 0
		.amdhsa_exception_fp_ieee_div_zero 0
		.amdhsa_exception_fp_ieee_overflow 0
		.amdhsa_exception_fp_ieee_underflow 0
		.amdhsa_exception_fp_ieee_inexact 0
		.amdhsa_exception_int_div_zero 0
	.end_amdhsa_kernel
	.text
.Lfunc_end0:
	.size	fft_rtc_fwd_len864_factors_3_6_16_3_wgs_54_tpt_54_halfLds_sp_op_CI_CI_sbrr_dirReg, .Lfunc_end0-fft_rtc_fwd_len864_factors_3_6_16_3_wgs_54_tpt_54_halfLds_sp_op_CI_CI_sbrr_dirReg
                                        ; -- End function
	.section	.AMDGPU.csdata,"",@progbits
; Kernel info:
; codeLenInByte = 9684
; NumSgprs: 36
; NumVgprs: 78
; ScratchSize: 0
; MemoryBound: 0
; FloatMode: 240
; IeeeMode: 1
; LDSByteSize: 0 bytes/workgroup (compile time only)
; SGPRBlocks: 4
; VGPRBlocks: 19
; NumSGPRsForWavesPerEU: 36
; NumVGPRsForWavesPerEU: 78
; Occupancy: 3
; WaveLimiterHint : 1
; COMPUTE_PGM_RSRC2:SCRATCH_EN: 0
; COMPUTE_PGM_RSRC2:USER_SGPR: 6
; COMPUTE_PGM_RSRC2:TRAP_HANDLER: 0
; COMPUTE_PGM_RSRC2:TGID_X_EN: 1
; COMPUTE_PGM_RSRC2:TGID_Y_EN: 0
; COMPUTE_PGM_RSRC2:TGID_Z_EN: 0
; COMPUTE_PGM_RSRC2:TIDIG_COMP_CNT: 0
	.type	__hip_cuid_9069c38c7df399e6,@object ; @__hip_cuid_9069c38c7df399e6
	.section	.bss,"aw",@nobits
	.globl	__hip_cuid_9069c38c7df399e6
__hip_cuid_9069c38c7df399e6:
	.byte	0                               ; 0x0
	.size	__hip_cuid_9069c38c7df399e6, 1

	.ident	"AMD clang version 19.0.0git (https://github.com/RadeonOpenCompute/llvm-project roc-6.4.0 25133 c7fe45cf4b819c5991fe208aaa96edf142730f1d)"
	.section	".note.GNU-stack","",@progbits
	.addrsig
	.addrsig_sym __hip_cuid_9069c38c7df399e6
	.amdgpu_metadata
---
amdhsa.kernels:
  - .args:
      - .actual_access:  read_only
        .address_space:  global
        .offset:         0
        .size:           8
        .value_kind:     global_buffer
      - .offset:         8
        .size:           8
        .value_kind:     by_value
      - .actual_access:  read_only
        .address_space:  global
        .offset:         16
        .size:           8
        .value_kind:     global_buffer
      - .actual_access:  read_only
        .address_space:  global
        .offset:         24
        .size:           8
        .value_kind:     global_buffer
      - .actual_access:  read_only
        .address_space:  global
        .offset:         32
        .size:           8
        .value_kind:     global_buffer
      - .offset:         40
        .size:           8
        .value_kind:     by_value
      - .actual_access:  read_only
        .address_space:  global
        .offset:         48
        .size:           8
        .value_kind:     global_buffer
      - .actual_access:  read_only
        .address_space:  global
        .offset:         56
        .size:           8
        .value_kind:     global_buffer
      - .offset:         64
        .size:           4
        .value_kind:     by_value
      - .actual_access:  read_only
        .address_space:  global
        .offset:         72
        .size:           8
        .value_kind:     global_buffer
      - .actual_access:  read_only
        .address_space:  global
        .offset:         80
        .size:           8
        .value_kind:     global_buffer
      - .actual_access:  read_only
        .address_space:  global
        .offset:         88
        .size:           8
        .value_kind:     global_buffer
      - .actual_access:  write_only
        .address_space:  global
        .offset:         96
        .size:           8
        .value_kind:     global_buffer
    .group_segment_fixed_size: 0
    .kernarg_segment_align: 8
    .kernarg_segment_size: 104
    .language:       OpenCL C
    .language_version:
      - 2
      - 0
    .max_flat_workgroup_size: 54
    .name:           fft_rtc_fwd_len864_factors_3_6_16_3_wgs_54_tpt_54_halfLds_sp_op_CI_CI_sbrr_dirReg
    .private_segment_fixed_size: 0
    .sgpr_count:     36
    .sgpr_spill_count: 0
    .symbol:         fft_rtc_fwd_len864_factors_3_6_16_3_wgs_54_tpt_54_halfLds_sp_op_CI_CI_sbrr_dirReg.kd
    .uniform_work_group_size: 1
    .uses_dynamic_stack: false
    .vgpr_count:     78
    .vgpr_spill_count: 0
    .wavefront_size: 64
amdhsa.target:   amdgcn-amd-amdhsa--gfx906
amdhsa.version:
  - 1
  - 2
...

	.end_amdgpu_metadata
